;; amdgpu-corpus repo=ROCm/rocSOLVER kind=compiled arch=gfx1250 opt=O3
	.amdgcn_target "amdgcn-amd-amdhsa--gfx1250"
	.amdhsa_code_object_version 6
	.section	.text._ZN9rocsolver6v33100L15rf_ipvec_kernelIfEEviPiS2_,"axG",@progbits,_ZN9rocsolver6v33100L15rf_ipvec_kernelIfEEviPiS2_,comdat
	.globl	_ZN9rocsolver6v33100L15rf_ipvec_kernelIfEEviPiS2_ ; -- Begin function _ZN9rocsolver6v33100L15rf_ipvec_kernelIfEEviPiS2_
	.p2align	8
	.type	_ZN9rocsolver6v33100L15rf_ipvec_kernelIfEEviPiS2_,@function
_ZN9rocsolver6v33100L15rf_ipvec_kernelIfEEviPiS2_: ; @_ZN9rocsolver6v33100L15rf_ipvec_kernelIfEEviPiS2_
; %bb.0:
	s_clause 0x1
	s_load_b32 s2, s[0:1], 0x24
	s_load_b32 s3, s[0:1], 0x0
	s_bfe_u32 s4, ttmp6, 0x4000c
	s_and_b32 s5, ttmp6, 15
	s_add_co_i32 s4, s4, 1
	s_getreg_b32 s6, hwreg(HW_REG_IB_STS2, 6, 4)
	s_mul_i32 s4, ttmp9, s4
	s_delay_alu instid0(SALU_CYCLE_1) | instskip(SKIP_4) | instid1(SALU_CYCLE_1)
	s_add_co_i32 s5, s5, s4
	s_wait_kmcnt 0x0
	s_and_b32 s2, s2, 0xffff
	s_cmp_eq_u32 s6, 0
	s_cselect_b32 s4, ttmp9, s5
	v_mad_u32 v0, s4, s2, v0
	s_mov_b32 s2, exec_lo
	s_delay_alu instid0(VALU_DEP_1)
	v_cmpx_gt_i32_e64 s3, v0
	s_cbranch_execz .LBB0_2
; %bb.1:
	s_load_b128 s[4:7], s[0:1], 0x8
	s_wait_kmcnt 0x0
	global_load_b32 v1, v0, s[4:5] scale_offset
	s_wait_loadcnt 0x0
	global_store_b32 v1, v0, s[6:7] scale_offset
.LBB0_2:
	s_endpgm
	.section	.rodata,"a",@progbits
	.p2align	6, 0x0
	.amdhsa_kernel _ZN9rocsolver6v33100L15rf_ipvec_kernelIfEEviPiS2_
		.amdhsa_group_segment_fixed_size 0
		.amdhsa_private_segment_fixed_size 0
		.amdhsa_kernarg_size 280
		.amdhsa_user_sgpr_count 2
		.amdhsa_user_sgpr_dispatch_ptr 0
		.amdhsa_user_sgpr_queue_ptr 0
		.amdhsa_user_sgpr_kernarg_segment_ptr 1
		.amdhsa_user_sgpr_dispatch_id 0
		.amdhsa_user_sgpr_kernarg_preload_length 0
		.amdhsa_user_sgpr_kernarg_preload_offset 0
		.amdhsa_user_sgpr_private_segment_size 0
		.amdhsa_wavefront_size32 1
		.amdhsa_uses_dynamic_stack 0
		.amdhsa_enable_private_segment 0
		.amdhsa_system_sgpr_workgroup_id_x 1
		.amdhsa_system_sgpr_workgroup_id_y 0
		.amdhsa_system_sgpr_workgroup_id_z 0
		.amdhsa_system_sgpr_workgroup_info 0
		.amdhsa_system_vgpr_workitem_id 0
		.amdhsa_next_free_vgpr 2
		.amdhsa_next_free_sgpr 8
		.amdhsa_named_barrier_count 0
		.amdhsa_reserve_vcc 0
		.amdhsa_float_round_mode_32 0
		.amdhsa_float_round_mode_16_64 0
		.amdhsa_float_denorm_mode_32 3
		.amdhsa_float_denorm_mode_16_64 3
		.amdhsa_fp16_overflow 0
		.amdhsa_memory_ordered 1
		.amdhsa_forward_progress 1
		.amdhsa_inst_pref_size 2
		.amdhsa_round_robin_scheduling 0
		.amdhsa_exception_fp_ieee_invalid_op 0
		.amdhsa_exception_fp_denorm_src 0
		.amdhsa_exception_fp_ieee_div_zero 0
		.amdhsa_exception_fp_ieee_overflow 0
		.amdhsa_exception_fp_ieee_underflow 0
		.amdhsa_exception_fp_ieee_inexact 0
		.amdhsa_exception_int_div_zero 0
	.end_amdhsa_kernel
	.section	.text._ZN9rocsolver6v33100L15rf_ipvec_kernelIfEEviPiS2_,"axG",@progbits,_ZN9rocsolver6v33100L15rf_ipvec_kernelIfEEviPiS2_,comdat
.Lfunc_end0:
	.size	_ZN9rocsolver6v33100L15rf_ipvec_kernelIfEEviPiS2_, .Lfunc_end0-_ZN9rocsolver6v33100L15rf_ipvec_kernelIfEEviPiS2_
                                        ; -- End function
	.set _ZN9rocsolver6v33100L15rf_ipvec_kernelIfEEviPiS2_.num_vgpr, 2
	.set _ZN9rocsolver6v33100L15rf_ipvec_kernelIfEEviPiS2_.num_agpr, 0
	.set _ZN9rocsolver6v33100L15rf_ipvec_kernelIfEEviPiS2_.numbered_sgpr, 8
	.set _ZN9rocsolver6v33100L15rf_ipvec_kernelIfEEviPiS2_.num_named_barrier, 0
	.set _ZN9rocsolver6v33100L15rf_ipvec_kernelIfEEviPiS2_.private_seg_size, 0
	.set _ZN9rocsolver6v33100L15rf_ipvec_kernelIfEEviPiS2_.uses_vcc, 0
	.set _ZN9rocsolver6v33100L15rf_ipvec_kernelIfEEviPiS2_.uses_flat_scratch, 0
	.set _ZN9rocsolver6v33100L15rf_ipvec_kernelIfEEviPiS2_.has_dyn_sized_stack, 0
	.set _ZN9rocsolver6v33100L15rf_ipvec_kernelIfEEviPiS2_.has_recursion, 0
	.set _ZN9rocsolver6v33100L15rf_ipvec_kernelIfEEviPiS2_.has_indirect_call, 0
	.section	.AMDGPU.csdata,"",@progbits
; Kernel info:
; codeLenInByte = 144
; TotalNumSgprs: 8
; NumVgprs: 2
; ScratchSize: 0
; MemoryBound: 0
; FloatMode: 240
; IeeeMode: 1
; LDSByteSize: 0 bytes/workgroup (compile time only)
; SGPRBlocks: 0
; VGPRBlocks: 0
; NumSGPRsForWavesPerEU: 8
; NumVGPRsForWavesPerEU: 2
; NamedBarCnt: 0
; Occupancy: 16
; WaveLimiterHint : 1
; COMPUTE_PGM_RSRC2:SCRATCH_EN: 0
; COMPUTE_PGM_RSRC2:USER_SGPR: 2
; COMPUTE_PGM_RSRC2:TRAP_HANDLER: 0
; COMPUTE_PGM_RSRC2:TGID_X_EN: 1
; COMPUTE_PGM_RSRC2:TGID_Y_EN: 0
; COMPUTE_PGM_RSRC2:TGID_Z_EN: 0
; COMPUTE_PGM_RSRC2:TIDIG_COMP_CNT: 0
	.section	.text._ZN9rocsolver6v33100L17rf_add_PAQ_kernelIfEEviPiS2_T_S2_S2_PS3_S2_S2_S4_,"axG",@progbits,_ZN9rocsolver6v33100L17rf_add_PAQ_kernelIfEEviPiS2_T_S2_S2_PS3_S2_S2_S4_,comdat
	.globl	_ZN9rocsolver6v33100L17rf_add_PAQ_kernelIfEEviPiS2_T_S2_S2_PS3_S2_S2_S4_ ; -- Begin function _ZN9rocsolver6v33100L17rf_add_PAQ_kernelIfEEviPiS2_T_S2_S2_PS3_S2_S2_S4_
	.p2align	8
	.type	_ZN9rocsolver6v33100L17rf_add_PAQ_kernelIfEEviPiS2_T_S2_S2_PS3_S2_S2_S4_,@function
_ZN9rocsolver6v33100L17rf_add_PAQ_kernelIfEEviPiS2_T_S2_S2_PS3_S2_S2_S4_: ; @_ZN9rocsolver6v33100L17rf_add_PAQ_kernelIfEEviPiS2_T_S2_S2_PS3_S2_S2_S4_
; %bb.0:
	s_clause 0x1
	s_load_b32 s2, s[0:1], 0x5c
	s_load_b32 s4, s[0:1], 0x0
	s_bfe_u32 s3, ttmp6, 0x4000c
	s_and_b32 s5, ttmp6, 15
	s_add_co_i32 s3, s3, 1
	s_getreg_b32 s6, hwreg(HW_REG_IB_STS2, 6, 4)
	s_mul_i32 s3, ttmp9, s3
	v_and_b32_e32 v1, 0x3ff, v0
	s_add_co_i32 s5, s5, s3
	s_wait_kmcnt 0x0
	s_and_b32 s2, s2, 0xffff
	s_cmp_eq_u32 s6, 0
	s_cselect_b32 s3, ttmp9, s5
	s_delay_alu instid0(SALU_CYCLE_1) | instskip(SKIP_1) | instid1(VALU_DEP_1)
	v_mad_u32 v4, s3, s2, v1
	s_mov_b32 s2, exec_lo
	v_cmpx_gt_i32_e64 s4, v4
	s_cbranch_execz .LBB1_22
; %bb.1:
	s_load_b256 s[4:11], s[0:1], 0x20
	v_ashrrev_i32_e32 v5, 31, v4
	s_wait_kmcnt 0x0
	s_delay_alu instid0(VALU_DEP_1)
	v_lshl_add_u64 v[2:3], v[4:5], 2, s[10:11]
	global_load_b64 v[2:3], v[2:3], off
	s_clause 0x1
	s_load_b128 s[12:15], s[0:1], 0x8
	s_load_b128 s[16:19], s[0:1], 0x40
	s_wait_kmcnt 0x0
	s_cmp_eq_u64 s[12:13], 0
	s_cbranch_scc1 .LBB1_3
; %bb.2:
	v_lshl_add_u64 v[4:5], v[4:5], 2, s[12:13]
	global_load_b32 v4, v[4:5], off
	s_wait_loadcnt 0x0
	v_ashrrev_i32_e32 v5, 31, v4
.LBB1_3:
	s_delay_alu instid0(VALU_DEP_1) | instskip(SKIP_4) | instid1(VALU_DEP_1)
	v_lshl_add_u64 v[4:5], v[4:5], 2, s[4:5]
	v_bfe_u32 v0, v0, 10, 10
	global_load_b64 v[4:5], v[4:5], off
	s_wait_loadcnt 0x0
	v_add_nc_u32_e32 v0, v4, v0
	v_cmp_lt_i32_e32 vcc_lo, v0, v5
	s_and_b32 exec_lo, exec_lo, vcc_lo
	s_cbranch_execz .LBB1_22
; %bb.4:
	s_add_nc_u64 s[4:5], s[0:1], 0x50
	s_load_b32 s2, s[0:1], 0x18
	s_load_u16 s3, s[4:5], 0xe
	s_cmp_lg_u64 s[14:15], 0
	s_wait_xcnt 0x0
	s_mov_b32 s4, 0
	s_cselect_b32 s1, -1, 0
	s_branch .LBB1_6
.LBB1_5:                                ;   in Loop: Header=BB1_6 Depth=1
	s_wait_xcnt 0x0
	s_or_b32 exec_lo, exec_lo, s0
	s_wait_kmcnt 0x0
	v_add_nc_u32_e32 v0, s3, v0
	s_delay_alu instid0(VALU_DEP_1) | instskip(SKIP_1) | instid1(SALU_CYCLE_1)
	v_cmp_ge_i32_e32 vcc_lo, v0, v5
	s_or_b32 s4, vcc_lo, s4
	s_and_not1_b32 exec_lo, exec_lo, s4
	s_cbranch_execz .LBB1_22
.LBB1_6:                                ; =>This Loop Header: Depth=1
                                        ;     Child Loop BB1_10 Depth 2
                                        ;     Child Loop BB1_16 Depth 2
	s_wait_loadcnt 0x0
	global_load_b32 v4, v0, s[6:7] scale_offset
	s_and_not1_b32 vcc_lo, exec_lo, s1
	s_cbranch_vccnz .LBB1_8
; %bb.7:                                ;   in Loop: Header=BB1_6 Depth=1
	s_wait_loadcnt 0x0
	global_load_b32 v4, v4, s[14:15] scale_offset
.LBB1_8:                                ;   in Loop: Header=BB1_6 Depth=1
	v_dual_ashrrev_i32 v1, 31, v0 :: v_dual_mov_b32 v9, v3
	v_mov_b32_e32 v8, v2
	s_mov_b32 s5, 0
                                        ; implicit-def: $sgpr10
                                        ; implicit-def: $sgpr12
                                        ; implicit-def: $sgpr11
	s_branch .LBB1_10
.LBB1_9:                                ;   in Loop: Header=BB1_10 Depth=2
	s_wait_xcnt 0x0
	s_or_b32 exec_lo, exec_lo, s13
	s_delay_alu instid0(SALU_CYCLE_1) | instskip(NEXT) | instid1(SALU_CYCLE_1)
	s_and_b32 s0, exec_lo, s12
	s_or_b32 s5, s0, s5
	s_and_not1_b32 s0, s10, exec_lo
	s_and_b32 s10, s11, exec_lo
	s_delay_alu instid0(SALU_CYCLE_1)
	s_or_b32 s10, s0, s10
	s_and_not1_b32 exec_lo, exec_lo, s5
	s_cbranch_execz .LBB1_12
.LBB1_10:                               ;   Parent Loop BB1_6 Depth=1
                                        ; =>  This Inner Loop Header: Depth=2
	s_delay_alu instid0(VALU_DEP_1) | instskip(SKIP_3) | instid1(VALU_DEP_1)
	v_dual_mov_b32 v10, v9 :: v_dual_mov_b32 v6, v8
	s_or_b32 s11, s11, exec_lo
	s_or_b32 s12, s12, exec_lo
	s_mov_b32 s13, exec_lo
                                        ; implicit-def: $vgpr8
                                        ; implicit-def: $vgpr9
                                        ; implicit-def: $vgpr7
	v_sub_nc_u32_e32 v11, v10, v6
	s_wait_xcnt 0x0
	s_delay_alu instid0(VALU_DEP_1)
	v_cmpx_lt_i32_e32 8, v11
	s_cbranch_execz .LBB1_9
; %bb.11:                               ;   in Loop: Header=BB1_10 Depth=2
	v_lshrrev_b32_e32 v7, 1, v11
	s_and_not1_b32 s12, s12, exec_lo
	s_and_not1_b32 s11, s11, exec_lo
	s_delay_alu instid0(VALU_DEP_1)
	v_add_nc_u32_e32 v7, v7, v6
	global_load_b32 v8, v7, s[16:17] scale_offset
	s_wait_loadcnt 0x0
	v_cmp_gt_i32_e32 vcc_lo, v8, v4
	v_add_nc_u32_e32 v11, 1, v7
	v_cmp_eq_u32_e64 s0, v8, v4
	s_delay_alu instid0(VALU_DEP_2) | instskip(SKIP_1) | instid1(SALU_CYCLE_1)
	v_dual_cndmask_b32 v9, v10, v7 :: v_dual_cndmask_b32 v8, v11, v6
	s_and_b32 s0, s0, exec_lo
	s_or_b32 s12, s12, s0
	s_branch .LBB1_9
.LBB1_12:                               ;   in Loop: Header=BB1_6 Depth=1
	s_or_b32 exec_lo, exec_lo, s5
	s_and_saveexec_b32 s0, s10
	s_delay_alu instid0(SALU_CYCLE_1)
	s_xor_b32 s0, exec_lo, s0
	s_cbranch_execz .LBB1_20
; %bb.13:                               ;   in Loop: Header=BB1_6 Depth=1
	v_mov_b32_e32 v7, -1
	s_mov_b32 s5, exec_lo
	v_cmpx_gt_i32_e64 v10, v6
	s_cbranch_execz .LBB1_19
; %bb.14:                               ;   in Loop: Header=BB1_6 Depth=1
	v_ashrrev_i32_e32 v7, 31, v6
	s_mov_b32 s10, 0
                                        ; implicit-def: $sgpr11
	s_delay_alu instid0(VALU_DEP_1)
	v_lshl_add_u64 v[8:9], v[6:7], 2, s[16:17]
	s_branch .LBB1_16
.LBB1_15:                               ;   in Loop: Header=BB1_16 Depth=2
	s_or_b32 exec_lo, exec_lo, s12
	v_dual_mov_b32 v7, v6 :: v_dual_mov_b32 v6, v11
	s_and_b32 s12, exec_lo, s11
	s_delay_alu instid0(SALU_CYCLE_1) | instskip(NEXT) | instid1(SALU_CYCLE_1)
	s_or_b32 s10, s12, s10
	s_and_not1_b32 exec_lo, exec_lo, s10
	s_cbranch_execz .LBB1_18
.LBB1_16:                               ;   Parent Loop BB1_6 Depth=1
                                        ; =>  This Inner Loop Header: Depth=2
	global_load_b32 v7, v[8:9], off
	s_or_b32 s11, s11, exec_lo
	s_mov_b32 s12, exec_lo
                                        ; implicit-def: $vgpr11
	s_wait_loadcnt 0x0
	s_wait_xcnt 0x0
	v_cmpx_ne_u32_e64 v7, v4
	s_cbranch_execz .LBB1_15
; %bb.17:                               ;   in Loop: Header=BB1_16 Depth=2
	v_dual_mov_b32 v6, -1 :: v_dual_add_nc_u32 v11, 1, v6
	v_add_nc_u64_e32 v[8:9], 4, v[8:9]
	s_and_not1_b32 s11, s11, exec_lo
	s_delay_alu instid0(VALU_DEP_2) | instskip(SKIP_1) | instid1(SALU_CYCLE_1)
	v_cmp_ge_i32_e32 vcc_lo, v11, v10
	s_and_b32 s13, vcc_lo, exec_lo
	s_or_b32 s11, s11, s13
	s_branch .LBB1_15
.LBB1_18:                               ;   in Loop: Header=BB1_6 Depth=1
	s_or_b32 exec_lo, exec_lo, s10
.LBB1_19:                               ;   in Loop: Header=BB1_6 Depth=1
	s_delay_alu instid0(SALU_CYCLE_1)
	s_or_b32 exec_lo, exec_lo, s5
.LBB1_20:                               ;   in Loop: Header=BB1_6 Depth=1
	s_delay_alu instid0(SALU_CYCLE_1) | instskip(NEXT) | instid1(SALU_CYCLE_1)
	s_or_b32 exec_lo, exec_lo, s0
	s_mov_b32 s0, exec_lo
	v_cmpx_ne_u32_e32 -1, v7
	s_cbranch_execz .LBB1_5
; %bb.21:                               ;   in Loop: Header=BB1_6 Depth=1
	v_lshl_add_u64 v[8:9], v[0:1], 2, s[8:9]
	global_load_b32 v1, v[8:9], off
	s_wait_loadcnt 0x1
	global_load_b32 v4, v7, s[18:19] scale_offset
	s_wait_loadcnt 0x0
	s_wait_kmcnt 0x0
	v_fmac_f32_e32 v4, s2, v1
	global_store_b32 v7, v4, s[18:19] scale_offset
	s_branch .LBB1_5
.LBB1_22:
	s_endpgm
	.section	.rodata,"a",@progbits
	.p2align	6, 0x0
	.amdhsa_kernel _ZN9rocsolver6v33100L17rf_add_PAQ_kernelIfEEviPiS2_T_S2_S2_PS3_S2_S2_S4_
		.amdhsa_group_segment_fixed_size 0
		.amdhsa_private_segment_fixed_size 0
		.amdhsa_kernarg_size 336
		.amdhsa_user_sgpr_count 2
		.amdhsa_user_sgpr_dispatch_ptr 0
		.amdhsa_user_sgpr_queue_ptr 0
		.amdhsa_user_sgpr_kernarg_segment_ptr 1
		.amdhsa_user_sgpr_dispatch_id 0
		.amdhsa_user_sgpr_kernarg_preload_length 0
		.amdhsa_user_sgpr_kernarg_preload_offset 0
		.amdhsa_user_sgpr_private_segment_size 0
		.amdhsa_wavefront_size32 1
		.amdhsa_uses_dynamic_stack 0
		.amdhsa_enable_private_segment 0
		.amdhsa_system_sgpr_workgroup_id_x 1
		.amdhsa_system_sgpr_workgroup_id_y 0
		.amdhsa_system_sgpr_workgroup_id_z 0
		.amdhsa_system_sgpr_workgroup_info 0
		.amdhsa_system_vgpr_workitem_id 1
		.amdhsa_next_free_vgpr 12
		.amdhsa_next_free_sgpr 20
		.amdhsa_named_barrier_count 0
		.amdhsa_reserve_vcc 1
		.amdhsa_float_round_mode_32 0
		.amdhsa_float_round_mode_16_64 0
		.amdhsa_float_denorm_mode_32 3
		.amdhsa_float_denorm_mode_16_64 3
		.amdhsa_fp16_overflow 0
		.amdhsa_memory_ordered 1
		.amdhsa_forward_progress 1
		.amdhsa_inst_pref_size 7
		.amdhsa_round_robin_scheduling 0
		.amdhsa_exception_fp_ieee_invalid_op 0
		.amdhsa_exception_fp_denorm_src 0
		.amdhsa_exception_fp_ieee_div_zero 0
		.amdhsa_exception_fp_ieee_overflow 0
		.amdhsa_exception_fp_ieee_underflow 0
		.amdhsa_exception_fp_ieee_inexact 0
		.amdhsa_exception_int_div_zero 0
	.end_amdhsa_kernel
	.section	.text._ZN9rocsolver6v33100L17rf_add_PAQ_kernelIfEEviPiS2_T_S2_S2_PS3_S2_S2_S4_,"axG",@progbits,_ZN9rocsolver6v33100L17rf_add_PAQ_kernelIfEEviPiS2_T_S2_S2_PS3_S2_S2_S4_,comdat
.Lfunc_end1:
	.size	_ZN9rocsolver6v33100L17rf_add_PAQ_kernelIfEEviPiS2_T_S2_S2_PS3_S2_S2_S4_, .Lfunc_end1-_ZN9rocsolver6v33100L17rf_add_PAQ_kernelIfEEviPiS2_T_S2_S2_PS3_S2_S2_S4_
                                        ; -- End function
	.set _ZN9rocsolver6v33100L17rf_add_PAQ_kernelIfEEviPiS2_T_S2_S2_PS3_S2_S2_S4_.num_vgpr, 12
	.set _ZN9rocsolver6v33100L17rf_add_PAQ_kernelIfEEviPiS2_T_S2_S2_PS3_S2_S2_S4_.num_agpr, 0
	.set _ZN9rocsolver6v33100L17rf_add_PAQ_kernelIfEEviPiS2_T_S2_S2_PS3_S2_S2_S4_.numbered_sgpr, 20
	.set _ZN9rocsolver6v33100L17rf_add_PAQ_kernelIfEEviPiS2_T_S2_S2_PS3_S2_S2_S4_.num_named_barrier, 0
	.set _ZN9rocsolver6v33100L17rf_add_PAQ_kernelIfEEviPiS2_T_S2_S2_PS3_S2_S2_S4_.private_seg_size, 0
	.set _ZN9rocsolver6v33100L17rf_add_PAQ_kernelIfEEviPiS2_T_S2_S2_PS3_S2_S2_S4_.uses_vcc, 1
	.set _ZN9rocsolver6v33100L17rf_add_PAQ_kernelIfEEviPiS2_T_S2_S2_PS3_S2_S2_S4_.uses_flat_scratch, 0
	.set _ZN9rocsolver6v33100L17rf_add_PAQ_kernelIfEEviPiS2_T_S2_S2_PS3_S2_S2_S4_.has_dyn_sized_stack, 0
	.set _ZN9rocsolver6v33100L17rf_add_PAQ_kernelIfEEviPiS2_T_S2_S2_PS3_S2_S2_S4_.has_recursion, 0
	.set _ZN9rocsolver6v33100L17rf_add_PAQ_kernelIfEEviPiS2_T_S2_S2_PS3_S2_S2_S4_.has_indirect_call, 0
	.section	.AMDGPU.csdata,"",@progbits
; Kernel info:
; codeLenInByte = 840
; TotalNumSgprs: 22
; NumVgprs: 12
; ScratchSize: 0
; MemoryBound: 0
; FloatMode: 240
; IeeeMode: 1
; LDSByteSize: 0 bytes/workgroup (compile time only)
; SGPRBlocks: 0
; VGPRBlocks: 0
; NumSGPRsForWavesPerEU: 22
; NumVGPRsForWavesPerEU: 12
; NamedBarCnt: 0
; Occupancy: 16
; WaveLimiterHint : 1
; COMPUTE_PGM_RSRC2:SCRATCH_EN: 0
; COMPUTE_PGM_RSRC2:USER_SGPR: 2
; COMPUTE_PGM_RSRC2:TRAP_HANDLER: 0
; COMPUTE_PGM_RSRC2:TGID_X_EN: 1
; COMPUTE_PGM_RSRC2:TGID_Y_EN: 0
; COMPUTE_PGM_RSRC2:TGID_Z_EN: 0
; COMPUTE_PGM_RSRC2:TIDIG_COMP_CNT: 1
	.section	.text._ZN9rocsolver6v33100L15rf_ipvec_kernelIdEEviPiS2_,"axG",@progbits,_ZN9rocsolver6v33100L15rf_ipvec_kernelIdEEviPiS2_,comdat
	.globl	_ZN9rocsolver6v33100L15rf_ipvec_kernelIdEEviPiS2_ ; -- Begin function _ZN9rocsolver6v33100L15rf_ipvec_kernelIdEEviPiS2_
	.p2align	8
	.type	_ZN9rocsolver6v33100L15rf_ipvec_kernelIdEEviPiS2_,@function
_ZN9rocsolver6v33100L15rf_ipvec_kernelIdEEviPiS2_: ; @_ZN9rocsolver6v33100L15rf_ipvec_kernelIdEEviPiS2_
; %bb.0:
	s_clause 0x1
	s_load_b32 s2, s[0:1], 0x24
	s_load_b32 s3, s[0:1], 0x0
	s_bfe_u32 s4, ttmp6, 0x4000c
	s_and_b32 s5, ttmp6, 15
	s_add_co_i32 s4, s4, 1
	s_getreg_b32 s6, hwreg(HW_REG_IB_STS2, 6, 4)
	s_mul_i32 s4, ttmp9, s4
	s_delay_alu instid0(SALU_CYCLE_1) | instskip(SKIP_4) | instid1(SALU_CYCLE_1)
	s_add_co_i32 s5, s5, s4
	s_wait_kmcnt 0x0
	s_and_b32 s2, s2, 0xffff
	s_cmp_eq_u32 s6, 0
	s_cselect_b32 s4, ttmp9, s5
	v_mad_u32 v0, s4, s2, v0
	s_mov_b32 s2, exec_lo
	s_delay_alu instid0(VALU_DEP_1)
	v_cmpx_gt_i32_e64 s3, v0
	s_cbranch_execz .LBB2_2
; %bb.1:
	s_load_b128 s[4:7], s[0:1], 0x8
	s_wait_kmcnt 0x0
	global_load_b32 v1, v0, s[4:5] scale_offset
	s_wait_loadcnt 0x0
	global_store_b32 v1, v0, s[6:7] scale_offset
.LBB2_2:
	s_endpgm
	.section	.rodata,"a",@progbits
	.p2align	6, 0x0
	.amdhsa_kernel _ZN9rocsolver6v33100L15rf_ipvec_kernelIdEEviPiS2_
		.amdhsa_group_segment_fixed_size 0
		.amdhsa_private_segment_fixed_size 0
		.amdhsa_kernarg_size 280
		.amdhsa_user_sgpr_count 2
		.amdhsa_user_sgpr_dispatch_ptr 0
		.amdhsa_user_sgpr_queue_ptr 0
		.amdhsa_user_sgpr_kernarg_segment_ptr 1
		.amdhsa_user_sgpr_dispatch_id 0
		.amdhsa_user_sgpr_kernarg_preload_length 0
		.amdhsa_user_sgpr_kernarg_preload_offset 0
		.amdhsa_user_sgpr_private_segment_size 0
		.amdhsa_wavefront_size32 1
		.amdhsa_uses_dynamic_stack 0
		.amdhsa_enable_private_segment 0
		.amdhsa_system_sgpr_workgroup_id_x 1
		.amdhsa_system_sgpr_workgroup_id_y 0
		.amdhsa_system_sgpr_workgroup_id_z 0
		.amdhsa_system_sgpr_workgroup_info 0
		.amdhsa_system_vgpr_workitem_id 0
		.amdhsa_next_free_vgpr 2
		.amdhsa_next_free_sgpr 8
		.amdhsa_named_barrier_count 0
		.amdhsa_reserve_vcc 0
		.amdhsa_float_round_mode_32 0
		.amdhsa_float_round_mode_16_64 0
		.amdhsa_float_denorm_mode_32 3
		.amdhsa_float_denorm_mode_16_64 3
		.amdhsa_fp16_overflow 0
		.amdhsa_memory_ordered 1
		.amdhsa_forward_progress 1
		.amdhsa_inst_pref_size 2
		.amdhsa_round_robin_scheduling 0
		.amdhsa_exception_fp_ieee_invalid_op 0
		.amdhsa_exception_fp_denorm_src 0
		.amdhsa_exception_fp_ieee_div_zero 0
		.amdhsa_exception_fp_ieee_overflow 0
		.amdhsa_exception_fp_ieee_underflow 0
		.amdhsa_exception_fp_ieee_inexact 0
		.amdhsa_exception_int_div_zero 0
	.end_amdhsa_kernel
	.section	.text._ZN9rocsolver6v33100L15rf_ipvec_kernelIdEEviPiS2_,"axG",@progbits,_ZN9rocsolver6v33100L15rf_ipvec_kernelIdEEviPiS2_,comdat
.Lfunc_end2:
	.size	_ZN9rocsolver6v33100L15rf_ipvec_kernelIdEEviPiS2_, .Lfunc_end2-_ZN9rocsolver6v33100L15rf_ipvec_kernelIdEEviPiS2_
                                        ; -- End function
	.set _ZN9rocsolver6v33100L15rf_ipvec_kernelIdEEviPiS2_.num_vgpr, 2
	.set _ZN9rocsolver6v33100L15rf_ipvec_kernelIdEEviPiS2_.num_agpr, 0
	.set _ZN9rocsolver6v33100L15rf_ipvec_kernelIdEEviPiS2_.numbered_sgpr, 8
	.set _ZN9rocsolver6v33100L15rf_ipvec_kernelIdEEviPiS2_.num_named_barrier, 0
	.set _ZN9rocsolver6v33100L15rf_ipvec_kernelIdEEviPiS2_.private_seg_size, 0
	.set _ZN9rocsolver6v33100L15rf_ipvec_kernelIdEEviPiS2_.uses_vcc, 0
	.set _ZN9rocsolver6v33100L15rf_ipvec_kernelIdEEviPiS2_.uses_flat_scratch, 0
	.set _ZN9rocsolver6v33100L15rf_ipvec_kernelIdEEviPiS2_.has_dyn_sized_stack, 0
	.set _ZN9rocsolver6v33100L15rf_ipvec_kernelIdEEviPiS2_.has_recursion, 0
	.set _ZN9rocsolver6v33100L15rf_ipvec_kernelIdEEviPiS2_.has_indirect_call, 0
	.section	.AMDGPU.csdata,"",@progbits
; Kernel info:
; codeLenInByte = 144
; TotalNumSgprs: 8
; NumVgprs: 2
; ScratchSize: 0
; MemoryBound: 0
; FloatMode: 240
; IeeeMode: 1
; LDSByteSize: 0 bytes/workgroup (compile time only)
; SGPRBlocks: 0
; VGPRBlocks: 0
; NumSGPRsForWavesPerEU: 8
; NumVGPRsForWavesPerEU: 2
; NamedBarCnt: 0
; Occupancy: 16
; WaveLimiterHint : 1
; COMPUTE_PGM_RSRC2:SCRATCH_EN: 0
; COMPUTE_PGM_RSRC2:USER_SGPR: 2
; COMPUTE_PGM_RSRC2:TRAP_HANDLER: 0
; COMPUTE_PGM_RSRC2:TGID_X_EN: 1
; COMPUTE_PGM_RSRC2:TGID_Y_EN: 0
; COMPUTE_PGM_RSRC2:TGID_Z_EN: 0
; COMPUTE_PGM_RSRC2:TIDIG_COMP_CNT: 0
	.section	.text._ZN9rocsolver6v33100L17rf_add_PAQ_kernelIdEEviPiS2_T_S2_S2_PS3_S2_S2_S4_,"axG",@progbits,_ZN9rocsolver6v33100L17rf_add_PAQ_kernelIdEEviPiS2_T_S2_S2_PS3_S2_S2_S4_,comdat
	.globl	_ZN9rocsolver6v33100L17rf_add_PAQ_kernelIdEEviPiS2_T_S2_S2_PS3_S2_S2_S4_ ; -- Begin function _ZN9rocsolver6v33100L17rf_add_PAQ_kernelIdEEviPiS2_T_S2_S2_PS3_S2_S2_S4_
	.p2align	8
	.type	_ZN9rocsolver6v33100L17rf_add_PAQ_kernelIdEEviPiS2_T_S2_S2_PS3_S2_S2_S4_,@function
_ZN9rocsolver6v33100L17rf_add_PAQ_kernelIdEEviPiS2_T_S2_S2_PS3_S2_S2_S4_: ; @_ZN9rocsolver6v33100L17rf_add_PAQ_kernelIdEEviPiS2_T_S2_S2_PS3_S2_S2_S4_
; %bb.0:
	s_clause 0x1
	s_load_b32 s2, s[0:1], 0x5c
	s_load_b32 s4, s[0:1], 0x0
	s_bfe_u32 s3, ttmp6, 0x4000c
	s_and_b32 s5, ttmp6, 15
	s_add_co_i32 s3, s3, 1
	s_getreg_b32 s6, hwreg(HW_REG_IB_STS2, 6, 4)
	s_mul_i32 s3, ttmp9, s3
	v_and_b32_e32 v1, 0x3ff, v0
	s_add_co_i32 s5, s5, s3
	s_wait_kmcnt 0x0
	s_and_b32 s2, s2, 0xffff
	s_cmp_eq_u32 s6, 0
	s_cselect_b32 s3, ttmp9, s5
	s_delay_alu instid0(SALU_CYCLE_1) | instskip(SKIP_1) | instid1(VALU_DEP_1)
	v_mad_u32 v4, s3, s2, v1
	s_mov_b32 s2, exec_lo
	v_cmpx_gt_i32_e64 s4, v4
	s_cbranch_execz .LBB3_22
; %bb.1:
	s_load_b512 s[4:19], s[0:1], 0x8
	v_ashrrev_i32_e32 v5, 31, v4
	s_wait_kmcnt 0x0
	s_delay_alu instid0(VALU_DEP_1)
	v_lshl_add_u64 v[2:3], v[4:5], 2, s[16:17]
	s_cmp_eq_u64 s[4:5], 0
	global_load_b64 v[2:3], v[2:3], off
	s_cbranch_scc1 .LBB3_3
; %bb.2:
	v_lshl_add_u64 v[4:5], v[4:5], 2, s[4:5]
	global_load_b32 v4, v[4:5], off
	s_wait_loadcnt 0x0
	v_ashrrev_i32_e32 v5, 31, v4
.LBB3_3:
	s_delay_alu instid0(VALU_DEP_1) | instskip(SKIP_4) | instid1(VALU_DEP_1)
	v_lshl_add_u64 v[4:5], v[4:5], 2, s[10:11]
	v_bfe_u32 v0, v0, 10, 10
	global_load_b64 v[4:5], v[4:5], off
	s_wait_loadcnt 0x0
	v_add_nc_u32_e32 v0, v4, v0
	v_cmp_lt_i32_e32 vcc_lo, v0, v5
	s_and_b32 exec_lo, exec_lo, vcc_lo
	s_cbranch_execz .LBB3_22
; %bb.4:
	s_add_nc_u64 s[10:11], s[0:1], 0x50
	s_load_b64 s[2:3], s[0:1], 0x48
	s_load_u16 s4, s[10:11], 0xe
	s_cmp_lg_u64 s[6:7], 0
	s_mov_b32 s5, 0
	s_wait_xcnt 0x0
	s_cselect_b32 s1, -1, 0
	s_branch .LBB3_6
.LBB3_5:                                ;   in Loop: Header=BB3_6 Depth=1
	s_wait_xcnt 0x0
	s_or_b32 exec_lo, exec_lo, s0
	s_wait_kmcnt 0x0
	v_add_nc_u32_e32 v0, s4, v0
	s_delay_alu instid0(VALU_DEP_1) | instskip(SKIP_1) | instid1(SALU_CYCLE_1)
	v_cmp_ge_i32_e32 vcc_lo, v0, v5
	s_or_b32 s5, vcc_lo, s5
	s_and_not1_b32 exec_lo, exec_lo, s5
	s_cbranch_execz .LBB3_22
.LBB3_6:                                ; =>This Loop Header: Depth=1
                                        ;     Child Loop BB3_10 Depth 2
                                        ;     Child Loop BB3_16 Depth 2
	s_wait_loadcnt 0x0
	global_load_b32 v4, v0, s[12:13] scale_offset
	s_and_not1_b32 vcc_lo, exec_lo, s1
	s_cbranch_vccnz .LBB3_8
; %bb.7:                                ;   in Loop: Header=BB3_6 Depth=1
	s_wait_loadcnt 0x0
	global_load_b32 v4, v4, s[6:7] scale_offset
.LBB3_8:                                ;   in Loop: Header=BB3_6 Depth=1
	v_dual_ashrrev_i32 v1, 31, v0 :: v_dual_mov_b32 v9, v3
	v_mov_b32_e32 v8, v2
	s_mov_b32 s10, 0
                                        ; implicit-def: $sgpr11
                                        ; implicit-def: $sgpr17
                                        ; implicit-def: $sgpr16
	s_branch .LBB3_10
.LBB3_9:                                ;   in Loop: Header=BB3_10 Depth=2
	s_wait_xcnt 0x0
	s_or_b32 exec_lo, exec_lo, s20
	s_delay_alu instid0(SALU_CYCLE_1) | instskip(NEXT) | instid1(SALU_CYCLE_1)
	s_and_b32 s0, exec_lo, s17
	s_or_b32 s10, s0, s10
	s_and_not1_b32 s0, s11, exec_lo
	s_and_b32 s11, s16, exec_lo
	s_delay_alu instid0(SALU_CYCLE_1)
	s_or_b32 s11, s0, s11
	s_and_not1_b32 exec_lo, exec_lo, s10
	s_cbranch_execz .LBB3_12
.LBB3_10:                               ;   Parent Loop BB3_6 Depth=1
                                        ; =>  This Inner Loop Header: Depth=2
	s_delay_alu instid0(VALU_DEP_1) | instskip(SKIP_3) | instid1(VALU_DEP_1)
	v_dual_mov_b32 v10, v9 :: v_dual_mov_b32 v6, v8
	s_or_b32 s16, s16, exec_lo
	s_or_b32 s17, s17, exec_lo
	s_mov_b32 s20, exec_lo
                                        ; implicit-def: $vgpr8
                                        ; implicit-def: $vgpr9
                                        ; implicit-def: $vgpr7
	v_sub_nc_u32_e32 v11, v10, v6
	s_wait_xcnt 0x0
	s_delay_alu instid0(VALU_DEP_1)
	v_cmpx_lt_i32_e32 8, v11
	s_cbranch_execz .LBB3_9
; %bb.11:                               ;   in Loop: Header=BB3_10 Depth=2
	v_lshrrev_b32_e32 v7, 1, v11
	s_and_not1_b32 s17, s17, exec_lo
	s_and_not1_b32 s16, s16, exec_lo
	s_delay_alu instid0(VALU_DEP_1)
	v_add_nc_u32_e32 v7, v7, v6
	global_load_b32 v8, v7, s[18:19] scale_offset
	s_wait_loadcnt 0x0
	v_cmp_gt_i32_e32 vcc_lo, v8, v4
	v_add_nc_u32_e32 v11, 1, v7
	v_cmp_eq_u32_e64 s0, v8, v4
	s_delay_alu instid0(VALU_DEP_2) | instskip(SKIP_1) | instid1(SALU_CYCLE_1)
	v_dual_cndmask_b32 v9, v10, v7 :: v_dual_cndmask_b32 v8, v11, v6
	s_and_b32 s0, s0, exec_lo
	s_or_b32 s17, s17, s0
	s_branch .LBB3_9
.LBB3_12:                               ;   in Loop: Header=BB3_6 Depth=1
	s_or_b32 exec_lo, exec_lo, s10
	s_and_saveexec_b32 s0, s11
	s_delay_alu instid0(SALU_CYCLE_1)
	s_xor_b32 s0, exec_lo, s0
	s_cbranch_execz .LBB3_20
; %bb.13:                               ;   in Loop: Header=BB3_6 Depth=1
	v_mov_b32_e32 v7, -1
	s_mov_b32 s10, exec_lo
	v_cmpx_gt_i32_e64 v10, v6
	s_cbranch_execz .LBB3_19
; %bb.14:                               ;   in Loop: Header=BB3_6 Depth=1
	v_ashrrev_i32_e32 v7, 31, v6
	s_mov_b32 s11, 0
                                        ; implicit-def: $sgpr16
	s_delay_alu instid0(VALU_DEP_1)
	v_lshl_add_u64 v[8:9], v[6:7], 2, s[18:19]
	s_branch .LBB3_16
.LBB3_15:                               ;   in Loop: Header=BB3_16 Depth=2
	s_or_b32 exec_lo, exec_lo, s17
	v_dual_mov_b32 v7, v6 :: v_dual_mov_b32 v6, v11
	s_and_b32 s17, exec_lo, s16
	s_delay_alu instid0(SALU_CYCLE_1) | instskip(NEXT) | instid1(SALU_CYCLE_1)
	s_or_b32 s11, s17, s11
	s_and_not1_b32 exec_lo, exec_lo, s11
	s_cbranch_execz .LBB3_18
.LBB3_16:                               ;   Parent Loop BB3_6 Depth=1
                                        ; =>  This Inner Loop Header: Depth=2
	global_load_b32 v7, v[8:9], off
	s_or_b32 s16, s16, exec_lo
	s_mov_b32 s17, exec_lo
                                        ; implicit-def: $vgpr11
	s_wait_loadcnt 0x0
	s_wait_xcnt 0x0
	v_cmpx_ne_u32_e64 v7, v4
	s_cbranch_execz .LBB3_15
; %bb.17:                               ;   in Loop: Header=BB3_16 Depth=2
	v_dual_mov_b32 v6, -1 :: v_dual_add_nc_u32 v11, 1, v6
	v_add_nc_u64_e32 v[8:9], 4, v[8:9]
	s_and_not1_b32 s16, s16, exec_lo
	s_delay_alu instid0(VALU_DEP_2) | instskip(SKIP_1) | instid1(SALU_CYCLE_1)
	v_cmp_ge_i32_e32 vcc_lo, v11, v10
	s_and_b32 s20, vcc_lo, exec_lo
	s_or_b32 s16, s16, s20
	s_branch .LBB3_15
.LBB3_18:                               ;   in Loop: Header=BB3_6 Depth=1
	s_or_b32 exec_lo, exec_lo, s11
.LBB3_19:                               ;   in Loop: Header=BB3_6 Depth=1
	s_delay_alu instid0(SALU_CYCLE_1)
	s_or_b32 exec_lo, exec_lo, s10
.LBB3_20:                               ;   in Loop: Header=BB3_6 Depth=1
	s_delay_alu instid0(SALU_CYCLE_1) | instskip(NEXT) | instid1(SALU_CYCLE_1)
	s_or_b32 exec_lo, exec_lo, s0
	s_mov_b32 s0, exec_lo
	v_cmpx_ne_u32_e32 -1, v7
	s_cbranch_execz .LBB3_5
; %bb.21:                               ;   in Loop: Header=BB3_6 Depth=1
	v_lshl_add_u64 v[8:9], v[0:1], 3, s[14:15]
	global_load_b64 v[10:11], v[8:9], off
	s_wait_kmcnt 0x0
	global_load_b64 v[12:13], v7, s[2:3] scale_offset
	s_wait_loadcnt 0x0
	v_fmac_f64_e32 v[12:13], s[8:9], v[10:11]
	global_store_b64 v7, v[12:13], s[2:3] scale_offset
	s_branch .LBB3_5
.LBB3_22:
	s_endpgm
	.section	.rodata,"a",@progbits
	.p2align	6, 0x0
	.amdhsa_kernel _ZN9rocsolver6v33100L17rf_add_PAQ_kernelIdEEviPiS2_T_S2_S2_PS3_S2_S2_S4_
		.amdhsa_group_segment_fixed_size 0
		.amdhsa_private_segment_fixed_size 0
		.amdhsa_kernarg_size 336
		.amdhsa_user_sgpr_count 2
		.amdhsa_user_sgpr_dispatch_ptr 0
		.amdhsa_user_sgpr_queue_ptr 0
		.amdhsa_user_sgpr_kernarg_segment_ptr 1
		.amdhsa_user_sgpr_dispatch_id 0
		.amdhsa_user_sgpr_kernarg_preload_length 0
		.amdhsa_user_sgpr_kernarg_preload_offset 0
		.amdhsa_user_sgpr_private_segment_size 0
		.amdhsa_wavefront_size32 1
		.amdhsa_uses_dynamic_stack 0
		.amdhsa_enable_private_segment 0
		.amdhsa_system_sgpr_workgroup_id_x 1
		.amdhsa_system_sgpr_workgroup_id_y 0
		.amdhsa_system_sgpr_workgroup_id_z 0
		.amdhsa_system_sgpr_workgroup_info 0
		.amdhsa_system_vgpr_workitem_id 1
		.amdhsa_next_free_vgpr 14
		.amdhsa_next_free_sgpr 21
		.amdhsa_named_barrier_count 0
		.amdhsa_reserve_vcc 1
		.amdhsa_float_round_mode_32 0
		.amdhsa_float_round_mode_16_64 0
		.amdhsa_float_denorm_mode_32 3
		.amdhsa_float_denorm_mode_16_64 3
		.amdhsa_fp16_overflow 0
		.amdhsa_memory_ordered 1
		.amdhsa_forward_progress 1
		.amdhsa_inst_pref_size 7
		.amdhsa_round_robin_scheduling 0
		.amdhsa_exception_fp_ieee_invalid_op 0
		.amdhsa_exception_fp_denorm_src 0
		.amdhsa_exception_fp_ieee_div_zero 0
		.amdhsa_exception_fp_ieee_overflow 0
		.amdhsa_exception_fp_ieee_underflow 0
		.amdhsa_exception_fp_ieee_inexact 0
		.amdhsa_exception_int_div_zero 0
	.end_amdhsa_kernel
	.section	.text._ZN9rocsolver6v33100L17rf_add_PAQ_kernelIdEEviPiS2_T_S2_S2_PS3_S2_S2_S4_,"axG",@progbits,_ZN9rocsolver6v33100L17rf_add_PAQ_kernelIdEEviPiS2_T_S2_S2_PS3_S2_S2_S4_,comdat
.Lfunc_end3:
	.size	_ZN9rocsolver6v33100L17rf_add_PAQ_kernelIdEEviPiS2_T_S2_S2_PS3_S2_S2_S4_, .Lfunc_end3-_ZN9rocsolver6v33100L17rf_add_PAQ_kernelIdEEviPiS2_T_S2_S2_PS3_S2_S2_S4_
                                        ; -- End function
	.set _ZN9rocsolver6v33100L17rf_add_PAQ_kernelIdEEviPiS2_T_S2_S2_PS3_S2_S2_S4_.num_vgpr, 14
	.set _ZN9rocsolver6v33100L17rf_add_PAQ_kernelIdEEviPiS2_T_S2_S2_PS3_S2_S2_S4_.num_agpr, 0
	.set _ZN9rocsolver6v33100L17rf_add_PAQ_kernelIdEEviPiS2_T_S2_S2_PS3_S2_S2_S4_.numbered_sgpr, 21
	.set _ZN9rocsolver6v33100L17rf_add_PAQ_kernelIdEEviPiS2_T_S2_S2_PS3_S2_S2_S4_.num_named_barrier, 0
	.set _ZN9rocsolver6v33100L17rf_add_PAQ_kernelIdEEviPiS2_T_S2_S2_PS3_S2_S2_S4_.private_seg_size, 0
	.set _ZN9rocsolver6v33100L17rf_add_PAQ_kernelIdEEviPiS2_T_S2_S2_PS3_S2_S2_S4_.uses_vcc, 1
	.set _ZN9rocsolver6v33100L17rf_add_PAQ_kernelIdEEviPiS2_T_S2_S2_PS3_S2_S2_S4_.uses_flat_scratch, 0
	.set _ZN9rocsolver6v33100L17rf_add_PAQ_kernelIdEEviPiS2_T_S2_S2_PS3_S2_S2_S4_.has_dyn_sized_stack, 0
	.set _ZN9rocsolver6v33100L17rf_add_PAQ_kernelIdEEviPiS2_T_S2_S2_PS3_S2_S2_S4_.has_recursion, 0
	.set _ZN9rocsolver6v33100L17rf_add_PAQ_kernelIdEEviPiS2_T_S2_S2_PS3_S2_S2_S4_.has_indirect_call, 0
	.section	.AMDGPU.csdata,"",@progbits
; Kernel info:
; codeLenInByte = 812
; TotalNumSgprs: 23
; NumVgprs: 14
; ScratchSize: 0
; MemoryBound: 0
; FloatMode: 240
; IeeeMode: 1
; LDSByteSize: 0 bytes/workgroup (compile time only)
; SGPRBlocks: 0
; VGPRBlocks: 0
; NumSGPRsForWavesPerEU: 23
; NumVGPRsForWavesPerEU: 14
; NamedBarCnt: 0
; Occupancy: 16
; WaveLimiterHint : 1
; COMPUTE_PGM_RSRC2:SCRATCH_EN: 0
; COMPUTE_PGM_RSRC2:USER_SGPR: 2
; COMPUTE_PGM_RSRC2:TRAP_HANDLER: 0
; COMPUTE_PGM_RSRC2:TGID_X_EN: 1
; COMPUTE_PGM_RSRC2:TGID_Y_EN: 0
; COMPUTE_PGM_RSRC2:TGID_Z_EN: 0
; COMPUTE_PGM_RSRC2:TIDIG_COMP_CNT: 1
	.section	.AMDGPU.gpr_maximums,"",@progbits
	.set amdgpu.max_num_vgpr, 0
	.set amdgpu.max_num_agpr, 0
	.set amdgpu.max_num_sgpr, 0
	.section	.AMDGPU.csdata,"",@progbits
	.type	__hip_cuid_10f76144f3a932ed,@object ; @__hip_cuid_10f76144f3a932ed
	.section	.bss,"aw",@nobits
	.globl	__hip_cuid_10f76144f3a932ed
__hip_cuid_10f76144f3a932ed:
	.byte	0                               ; 0x0
	.size	__hip_cuid_10f76144f3a932ed, 1

	.ident	"AMD clang version 22.0.0git (https://github.com/RadeonOpenCompute/llvm-project roc-7.2.4 26084 f58b06dce1f9c15707c5f808fd002e18c2accf7e)"
	.section	".note.GNU-stack","",@progbits
	.addrsig
	.addrsig_sym __hip_cuid_10f76144f3a932ed
	.amdgpu_metadata
---
amdhsa.kernels:
  - .args:
      - .offset:         0
        .size:           4
        .value_kind:     by_value
      - .address_space:  global
        .offset:         8
        .size:           8
        .value_kind:     global_buffer
      - .address_space:  global
        .offset:         16
        .size:           8
        .value_kind:     global_buffer
      - .offset:         24
        .size:           4
        .value_kind:     hidden_block_count_x
      - .offset:         28
        .size:           4
        .value_kind:     hidden_block_count_y
      - .offset:         32
        .size:           4
        .value_kind:     hidden_block_count_z
      - .offset:         36
        .size:           2
        .value_kind:     hidden_group_size_x
      - .offset:         38
        .size:           2
        .value_kind:     hidden_group_size_y
      - .offset:         40
        .size:           2
        .value_kind:     hidden_group_size_z
      - .offset:         42
        .size:           2
        .value_kind:     hidden_remainder_x
      - .offset:         44
        .size:           2
        .value_kind:     hidden_remainder_y
      - .offset:         46
        .size:           2
        .value_kind:     hidden_remainder_z
      - .offset:         64
        .size:           8
        .value_kind:     hidden_global_offset_x
      - .offset:         72
        .size:           8
        .value_kind:     hidden_global_offset_y
      - .offset:         80
        .size:           8
        .value_kind:     hidden_global_offset_z
      - .offset:         88
        .size:           2
        .value_kind:     hidden_grid_dims
    .group_segment_fixed_size: 0
    .kernarg_segment_align: 8
    .kernarg_segment_size: 280
    .language:       OpenCL C
    .language_version:
      - 2
      - 0
    .max_flat_workgroup_size: 1024
    .name:           _ZN9rocsolver6v33100L15rf_ipvec_kernelIfEEviPiS2_
    .private_segment_fixed_size: 0
    .sgpr_count:     8
    .sgpr_spill_count: 0
    .symbol:         _ZN9rocsolver6v33100L15rf_ipvec_kernelIfEEviPiS2_.kd
    .uniform_work_group_size: 1
    .uses_dynamic_stack: false
    .vgpr_count:     2
    .vgpr_spill_count: 0
    .wavefront_size: 32
  - .args:
      - .offset:         0
        .size:           4
        .value_kind:     by_value
      - .address_space:  global
        .offset:         8
        .size:           8
        .value_kind:     global_buffer
      - .address_space:  global
        .offset:         16
        .size:           8
        .value_kind:     global_buffer
      - .offset:         24
        .size:           4
        .value_kind:     by_value
      - .address_space:  global
        .offset:         32
        .size:           8
        .value_kind:     global_buffer
      - .address_space:  global
        .offset:         40
        .size:           8
        .value_kind:     global_buffer
      - .address_space:  global
        .offset:         48
        .size:           8
        .value_kind:     global_buffer
      - .address_space:  global
        .offset:         56
        .size:           8
        .value_kind:     global_buffer
      - .address_space:  global
        .offset:         64
        .size:           8
        .value_kind:     global_buffer
      - .address_space:  global
        .offset:         72
        .size:           8
        .value_kind:     global_buffer
      - .offset:         80
        .size:           4
        .value_kind:     hidden_block_count_x
      - .offset:         84
        .size:           4
        .value_kind:     hidden_block_count_y
      - .offset:         88
        .size:           4
        .value_kind:     hidden_block_count_z
      - .offset:         92
        .size:           2
        .value_kind:     hidden_group_size_x
      - .offset:         94
        .size:           2
        .value_kind:     hidden_group_size_y
      - .offset:         96
        .size:           2
        .value_kind:     hidden_group_size_z
      - .offset:         98
        .size:           2
        .value_kind:     hidden_remainder_x
      - .offset:         100
        .size:           2
        .value_kind:     hidden_remainder_y
      - .offset:         102
        .size:           2
        .value_kind:     hidden_remainder_z
      - .offset:         120
        .size:           8
        .value_kind:     hidden_global_offset_x
      - .offset:         128
        .size:           8
        .value_kind:     hidden_global_offset_y
      - .offset:         136
        .size:           8
        .value_kind:     hidden_global_offset_z
      - .offset:         144
        .size:           2
        .value_kind:     hidden_grid_dims
    .group_segment_fixed_size: 0
    .kernarg_segment_align: 8
    .kernarg_segment_size: 336
    .language:       OpenCL C
    .language_version:
      - 2
      - 0
    .max_flat_workgroup_size: 1024
    .name:           _ZN9rocsolver6v33100L17rf_add_PAQ_kernelIfEEviPiS2_T_S2_S2_PS3_S2_S2_S4_
    .private_segment_fixed_size: 0
    .sgpr_count:     22
    .sgpr_spill_count: 0
    .symbol:         _ZN9rocsolver6v33100L17rf_add_PAQ_kernelIfEEviPiS2_T_S2_S2_PS3_S2_S2_S4_.kd
    .uniform_work_group_size: 1
    .uses_dynamic_stack: false
    .vgpr_count:     12
    .vgpr_spill_count: 0
    .wavefront_size: 32
  - .args:
      - .offset:         0
        .size:           4
        .value_kind:     by_value
      - .address_space:  global
        .offset:         8
        .size:           8
        .value_kind:     global_buffer
      - .address_space:  global
        .offset:         16
        .size:           8
        .value_kind:     global_buffer
      - .offset:         24
        .size:           4
        .value_kind:     hidden_block_count_x
      - .offset:         28
        .size:           4
        .value_kind:     hidden_block_count_y
      - .offset:         32
        .size:           4
        .value_kind:     hidden_block_count_z
      - .offset:         36
        .size:           2
        .value_kind:     hidden_group_size_x
      - .offset:         38
        .size:           2
        .value_kind:     hidden_group_size_y
      - .offset:         40
        .size:           2
        .value_kind:     hidden_group_size_z
      - .offset:         42
        .size:           2
        .value_kind:     hidden_remainder_x
      - .offset:         44
        .size:           2
        .value_kind:     hidden_remainder_y
      - .offset:         46
        .size:           2
        .value_kind:     hidden_remainder_z
      - .offset:         64
        .size:           8
        .value_kind:     hidden_global_offset_x
      - .offset:         72
        .size:           8
        .value_kind:     hidden_global_offset_y
      - .offset:         80
        .size:           8
        .value_kind:     hidden_global_offset_z
      - .offset:         88
        .size:           2
        .value_kind:     hidden_grid_dims
    .group_segment_fixed_size: 0
    .kernarg_segment_align: 8
    .kernarg_segment_size: 280
    .language:       OpenCL C
    .language_version:
      - 2
      - 0
    .max_flat_workgroup_size: 1024
    .name:           _ZN9rocsolver6v33100L15rf_ipvec_kernelIdEEviPiS2_
    .private_segment_fixed_size: 0
    .sgpr_count:     8
    .sgpr_spill_count: 0
    .symbol:         _ZN9rocsolver6v33100L15rf_ipvec_kernelIdEEviPiS2_.kd
    .uniform_work_group_size: 1
    .uses_dynamic_stack: false
    .vgpr_count:     2
    .vgpr_spill_count: 0
    .wavefront_size: 32
  - .args:
      - .offset:         0
        .size:           4
        .value_kind:     by_value
      - .address_space:  global
        .offset:         8
        .size:           8
        .value_kind:     global_buffer
      - .address_space:  global
        .offset:         16
        .size:           8
        .value_kind:     global_buffer
      - .offset:         24
        .size:           8
        .value_kind:     by_value
      - .address_space:  global
        .offset:         32
        .size:           8
        .value_kind:     global_buffer
      - .address_space:  global
        .offset:         40
        .size:           8
        .value_kind:     global_buffer
      - .address_space:  global
        .offset:         48
        .size:           8
        .value_kind:     global_buffer
      - .address_space:  global
        .offset:         56
        .size:           8
        .value_kind:     global_buffer
      - .address_space:  global
        .offset:         64
        .size:           8
        .value_kind:     global_buffer
      - .address_space:  global
        .offset:         72
        .size:           8
        .value_kind:     global_buffer
      - .offset:         80
        .size:           4
        .value_kind:     hidden_block_count_x
      - .offset:         84
        .size:           4
        .value_kind:     hidden_block_count_y
      - .offset:         88
        .size:           4
        .value_kind:     hidden_block_count_z
      - .offset:         92
        .size:           2
        .value_kind:     hidden_group_size_x
      - .offset:         94
        .size:           2
        .value_kind:     hidden_group_size_y
      - .offset:         96
        .size:           2
        .value_kind:     hidden_group_size_z
      - .offset:         98
        .size:           2
        .value_kind:     hidden_remainder_x
      - .offset:         100
        .size:           2
        .value_kind:     hidden_remainder_y
      - .offset:         102
        .size:           2
        .value_kind:     hidden_remainder_z
      - .offset:         120
        .size:           8
        .value_kind:     hidden_global_offset_x
      - .offset:         128
        .size:           8
        .value_kind:     hidden_global_offset_y
      - .offset:         136
        .size:           8
        .value_kind:     hidden_global_offset_z
      - .offset:         144
        .size:           2
        .value_kind:     hidden_grid_dims
    .group_segment_fixed_size: 0
    .kernarg_segment_align: 8
    .kernarg_segment_size: 336
    .language:       OpenCL C
    .language_version:
      - 2
      - 0
    .max_flat_workgroup_size: 1024
    .name:           _ZN9rocsolver6v33100L17rf_add_PAQ_kernelIdEEviPiS2_T_S2_S2_PS3_S2_S2_S4_
    .private_segment_fixed_size: 0
    .sgpr_count:     23
    .sgpr_spill_count: 0
    .symbol:         _ZN9rocsolver6v33100L17rf_add_PAQ_kernelIdEEviPiS2_T_S2_S2_PS3_S2_S2_S4_.kd
    .uniform_work_group_size: 1
    .uses_dynamic_stack: false
    .vgpr_count:     14
    .vgpr_spill_count: 0
    .wavefront_size: 32
amdhsa.target:   amdgcn-amd-amdhsa--gfx1250
amdhsa.version:
  - 1
  - 2
...

	.end_amdgpu_metadata
